;; amdgpu-corpus repo=ROCm/rocFFT kind=compiled arch=gfx1030 opt=O3
	.text
	.amdgcn_target "amdgcn-amd-amdhsa--gfx1030"
	.amdhsa_code_object_version 6
	.protected	fft_rtc_fwd_len330_factors_11_10_3_wgs_99_tpt_33_dp_ip_CI_unitstride_sbrr_C2R_dirReg ; -- Begin function fft_rtc_fwd_len330_factors_11_10_3_wgs_99_tpt_33_dp_ip_CI_unitstride_sbrr_C2R_dirReg
	.globl	fft_rtc_fwd_len330_factors_11_10_3_wgs_99_tpt_33_dp_ip_CI_unitstride_sbrr_C2R_dirReg
	.p2align	8
	.type	fft_rtc_fwd_len330_factors_11_10_3_wgs_99_tpt_33_dp_ip_CI_unitstride_sbrr_C2R_dirReg,@function
fft_rtc_fwd_len330_factors_11_10_3_wgs_99_tpt_33_dp_ip_CI_unitstride_sbrr_C2R_dirReg: ; @fft_rtc_fwd_len330_factors_11_10_3_wgs_99_tpt_33_dp_ip_CI_unitstride_sbrr_C2R_dirReg
; %bb.0:
	s_load_dwordx4 s[8:11], s[4:5], 0x0
	v_mul_u32_u24_e32 v1, 0x7c2, v0
	s_clause 0x1
	s_load_dwordx2 s[2:3], s[4:5], 0x50
	s_load_dwordx2 s[12:13], s[4:5], 0x18
	v_mov_b32_e32 v5, 0
	v_mov_b32_e32 v3, 0
	;; [unrolled: 1-line block ×3, first 2 shown]
	v_lshrrev_b32_e32 v1, 16, v1
	v_mad_u64_u32 v[1:2], null, s6, 3, v[1:2]
	v_mov_b32_e32 v2, v5
	v_mov_b32_e32 v10, v2
	;; [unrolled: 1-line block ×3, first 2 shown]
	s_waitcnt lgkmcnt(0)
	v_cmp_lt_u64_e64 s0, s[10:11], 2
	s_and_b32 vcc_lo, exec_lo, s0
	s_cbranch_vccnz .LBB0_8
; %bb.1:
	s_load_dwordx2 s[0:1], s[4:5], 0x10
	v_mov_b32_e32 v3, 0
	v_mov_b32_e32 v8, v2
	s_add_u32 s6, s12, 8
	v_mov_b32_e32 v4, 0
	v_mov_b32_e32 v7, v1
	s_addc_u32 s7, s13, 0
	s_mov_b64 s[16:17], 1
	s_waitcnt lgkmcnt(0)
	s_add_u32 s14, s0, 8
	s_addc_u32 s15, s1, 0
.LBB0_2:                                ; =>This Inner Loop Header: Depth=1
	s_load_dwordx2 s[18:19], s[14:15], 0x0
                                        ; implicit-def: $vgpr9_vgpr10
	s_mov_b32 s0, exec_lo
	s_waitcnt lgkmcnt(0)
	v_or_b32_e32 v6, s19, v8
	v_cmpx_ne_u64_e32 0, v[5:6]
	s_xor_b32 s1, exec_lo, s0
	s_cbranch_execz .LBB0_4
; %bb.3:                                ;   in Loop: Header=BB0_2 Depth=1
	v_cvt_f32_u32_e32 v2, s18
	v_cvt_f32_u32_e32 v6, s19
	s_sub_u32 s0, 0, s18
	s_subb_u32 s20, 0, s19
	v_fmac_f32_e32 v2, 0x4f800000, v6
	v_rcp_f32_e32 v2, v2
	v_mul_f32_e32 v2, 0x5f7ffffc, v2
	v_mul_f32_e32 v6, 0x2f800000, v2
	v_trunc_f32_e32 v6, v6
	v_fmac_f32_e32 v2, 0xcf800000, v6
	v_cvt_u32_f32_e32 v6, v6
	v_cvt_u32_f32_e32 v2, v2
	v_mul_lo_u32 v9, s0, v6
	v_mul_hi_u32 v10, s0, v2
	v_mul_lo_u32 v11, s20, v2
	v_add_nc_u32_e32 v9, v10, v9
	v_mul_lo_u32 v10, s0, v2
	v_add_nc_u32_e32 v9, v9, v11
	v_mul_hi_u32 v11, v2, v10
	v_mul_lo_u32 v12, v2, v9
	v_mul_hi_u32 v13, v2, v9
	v_mul_hi_u32 v14, v6, v10
	v_mul_lo_u32 v10, v6, v10
	v_mul_hi_u32 v15, v6, v9
	v_mul_lo_u32 v9, v6, v9
	v_add_co_u32 v11, vcc_lo, v11, v12
	v_add_co_ci_u32_e32 v12, vcc_lo, 0, v13, vcc_lo
	v_add_co_u32 v10, vcc_lo, v11, v10
	v_add_co_ci_u32_e32 v10, vcc_lo, v12, v14, vcc_lo
	v_add_co_ci_u32_e32 v11, vcc_lo, 0, v15, vcc_lo
	v_add_co_u32 v9, vcc_lo, v10, v9
	v_add_co_ci_u32_e32 v10, vcc_lo, 0, v11, vcc_lo
	v_add_co_u32 v2, vcc_lo, v2, v9
	v_add_co_ci_u32_e32 v6, vcc_lo, v6, v10, vcc_lo
	v_mul_hi_u32 v9, s0, v2
	v_mul_lo_u32 v11, s20, v2
	v_mul_lo_u32 v10, s0, v6
	v_add_nc_u32_e32 v9, v9, v10
	v_mul_lo_u32 v10, s0, v2
	v_add_nc_u32_e32 v9, v9, v11
	v_mul_hi_u32 v11, v2, v10
	v_mul_lo_u32 v12, v2, v9
	v_mul_hi_u32 v13, v2, v9
	v_mul_hi_u32 v14, v6, v10
	v_mul_lo_u32 v10, v6, v10
	v_mul_hi_u32 v15, v6, v9
	v_mul_lo_u32 v9, v6, v9
	v_add_co_u32 v11, vcc_lo, v11, v12
	v_add_co_ci_u32_e32 v12, vcc_lo, 0, v13, vcc_lo
	v_add_co_u32 v10, vcc_lo, v11, v10
	v_add_co_ci_u32_e32 v10, vcc_lo, v12, v14, vcc_lo
	v_add_co_ci_u32_e32 v11, vcc_lo, 0, v15, vcc_lo
	v_add_co_u32 v9, vcc_lo, v10, v9
	v_add_co_ci_u32_e32 v10, vcc_lo, 0, v11, vcc_lo
	v_add_co_u32 v2, vcc_lo, v2, v9
	v_add_co_ci_u32_e32 v6, vcc_lo, v6, v10, vcc_lo
	v_mul_hi_u32 v15, v7, v2
	v_mad_u64_u32 v[11:12], null, v8, v2, 0
	v_mad_u64_u32 v[9:10], null, v7, v6, 0
	v_mad_u64_u32 v[13:14], null, v8, v6, 0
	v_add_co_u32 v2, vcc_lo, v15, v9
	v_add_co_ci_u32_e32 v6, vcc_lo, 0, v10, vcc_lo
	v_add_co_u32 v2, vcc_lo, v2, v11
	v_add_co_ci_u32_e32 v2, vcc_lo, v6, v12, vcc_lo
	v_add_co_ci_u32_e32 v6, vcc_lo, 0, v14, vcc_lo
	v_add_co_u32 v2, vcc_lo, v2, v13
	v_add_co_ci_u32_e32 v6, vcc_lo, 0, v6, vcc_lo
	v_mul_lo_u32 v11, s19, v2
	v_mad_u64_u32 v[9:10], null, s18, v2, 0
	v_mul_lo_u32 v12, s18, v6
	v_sub_co_u32 v9, vcc_lo, v7, v9
	v_add3_u32 v10, v10, v12, v11
	v_sub_nc_u32_e32 v11, v8, v10
	v_subrev_co_ci_u32_e64 v11, s0, s19, v11, vcc_lo
	v_add_co_u32 v12, s0, v2, 2
	v_add_co_ci_u32_e64 v13, s0, 0, v6, s0
	v_sub_co_u32 v14, s0, v9, s18
	v_sub_co_ci_u32_e32 v10, vcc_lo, v8, v10, vcc_lo
	v_subrev_co_ci_u32_e64 v11, s0, 0, v11, s0
	v_cmp_le_u32_e32 vcc_lo, s18, v14
	v_cmp_eq_u32_e64 s0, s19, v10
	v_cndmask_b32_e64 v14, 0, -1, vcc_lo
	v_cmp_le_u32_e32 vcc_lo, s19, v11
	v_cndmask_b32_e64 v15, 0, -1, vcc_lo
	v_cmp_le_u32_e32 vcc_lo, s18, v9
	;; [unrolled: 2-line block ×3, first 2 shown]
	v_cndmask_b32_e64 v16, 0, -1, vcc_lo
	v_cmp_eq_u32_e32 vcc_lo, s19, v11
	v_cndmask_b32_e64 v9, v16, v9, s0
	v_cndmask_b32_e32 v11, v15, v14, vcc_lo
	v_add_co_u32 v14, vcc_lo, v2, 1
	v_add_co_ci_u32_e32 v15, vcc_lo, 0, v6, vcc_lo
	v_cmp_ne_u32_e32 vcc_lo, 0, v11
	v_cndmask_b32_e32 v10, v15, v13, vcc_lo
	v_cndmask_b32_e32 v11, v14, v12, vcc_lo
	v_cmp_ne_u32_e32 vcc_lo, 0, v9
	v_cndmask_b32_e32 v10, v6, v10, vcc_lo
	v_cndmask_b32_e32 v9, v2, v11, vcc_lo
.LBB0_4:                                ;   in Loop: Header=BB0_2 Depth=1
	s_andn2_saveexec_b32 s0, s1
	s_cbranch_execz .LBB0_6
; %bb.5:                                ;   in Loop: Header=BB0_2 Depth=1
	v_cvt_f32_u32_e32 v2, s18
	s_sub_i32 s1, 0, s18
	v_rcp_iflag_f32_e32 v2, v2
	v_mul_f32_e32 v2, 0x4f7ffffe, v2
	v_cvt_u32_f32_e32 v2, v2
	v_mul_lo_u32 v6, s1, v2
	v_mul_hi_u32 v6, v2, v6
	v_add_nc_u32_e32 v2, v2, v6
	v_mul_hi_u32 v2, v7, v2
	v_mul_lo_u32 v6, v2, s18
	v_add_nc_u32_e32 v9, 1, v2
	v_sub_nc_u32_e32 v6, v7, v6
	v_subrev_nc_u32_e32 v10, s18, v6
	v_cmp_le_u32_e32 vcc_lo, s18, v6
	v_cndmask_b32_e32 v6, v6, v10, vcc_lo
	v_cndmask_b32_e32 v2, v2, v9, vcc_lo
	v_mov_b32_e32 v10, v5
	v_cmp_le_u32_e32 vcc_lo, s18, v6
	v_add_nc_u32_e32 v9, 1, v2
	v_cndmask_b32_e32 v9, v2, v9, vcc_lo
.LBB0_6:                                ;   in Loop: Header=BB0_2 Depth=1
	s_or_b32 exec_lo, exec_lo, s0
	s_load_dwordx2 s[0:1], s[6:7], 0x0
	v_mul_lo_u32 v2, v10, s18
	v_mul_lo_u32 v6, v9, s19
	v_mad_u64_u32 v[11:12], null, v9, s18, 0
	s_add_u32 s16, s16, 1
	s_addc_u32 s17, s17, 0
	s_add_u32 s6, s6, 8
	s_addc_u32 s7, s7, 0
	;; [unrolled: 2-line block ×3, first 2 shown]
	v_add3_u32 v2, v12, v6, v2
	v_sub_co_u32 v6, vcc_lo, v7, v11
	v_sub_co_ci_u32_e32 v2, vcc_lo, v8, v2, vcc_lo
	s_waitcnt lgkmcnt(0)
	v_mul_lo_u32 v7, s1, v6
	v_mul_lo_u32 v2, s0, v2
	v_mad_u64_u32 v[3:4], null, s0, v6, v[3:4]
	v_cmp_ge_u64_e64 s0, s[16:17], s[10:11]
	s_and_b32 vcc_lo, exec_lo, s0
	v_add3_u32 v4, v7, v4, v2
	s_cbranch_vccnz .LBB0_8
; %bb.7:                                ;   in Loop: Header=BB0_2 Depth=1
	v_mov_b32_e32 v7, v9
	v_mov_b32_e32 v8, v10
	s_branch .LBB0_2
.LBB0_8:
	s_lshl_b64 s[0:1], s[10:11], 3
	v_mul_hi_u32 v2, 0xaaaaaaab, v1
	s_add_u32 s0, s12, s0
	s_addc_u32 s1, s13, s1
	s_load_dwordx2 s[4:5], s[4:5], 0x20
	s_load_dwordx2 s[0:1], s[0:1], 0x0
	v_mul_hi_u32 v5, 0x7c1f07d, v0
	v_lshrrev_b32_e32 v2, 1, v2
	v_lshl_add_u32 v6, v2, 1, v2
	v_sub_nc_u32_e32 v1, v1, v6
	s_waitcnt lgkmcnt(0)
	v_cmp_gt_u64_e32 vcc_lo, s[4:5], v[9:10]
	v_mul_lo_u32 v7, s0, v10
	v_mul_lo_u32 v8, s1, v9
	v_mad_u64_u32 v[2:3], null, s0, v9, v[3:4]
	v_mul_u32_u24_e32 v4, 33, v5
	v_mul_u32_u24_e32 v11, 0x14b, v1
	v_sub_nc_u32_e32 v48, v0, v4
	v_add3_u32 v3, v8, v3, v7
	v_lshlrev_b32_e32 v113, 4, v11
	v_lshlrev_b64 v[50:51], 4, v[2:3]
	s_and_saveexec_b32 s1, vcc_lo
	s_cbranch_execz .LBB0_12
; %bb.9:
	v_mov_b32_e32 v49, 0
	v_add_co_u32 v0, s0, s2, v50
	v_add_co_ci_u32_e64 v1, s0, s3, v51, s0
	v_lshlrev_b64 v[2:3], 4, v[48:49]
	s_mov_b32 s4, exec_lo
	v_add_co_u32 v20, s0, v0, v2
	v_add_co_ci_u32_e64 v21, s0, v1, v3, s0
	v_lshlrev_b32_e32 v2, 4, v48
	v_add_co_u32 v32, s0, 0x800, v20
	v_add_co_ci_u32_e64 v33, s0, 0, v21, s0
	v_add_co_u32 v40, s0, 0x1000, v20
	v_add_co_ci_u32_e64 v41, s0, 0, v21, s0
	s_clause 0x9
	global_load_dwordx4 v[3:6], v[20:21], off
	global_load_dwordx4 v[7:10], v[20:21], off offset:528
	global_load_dwordx4 v[12:15], v[20:21], off offset:1056
	;; [unrolled: 1-line block ×9, first 2 shown]
	v_add3_u32 v2, 0, v113, v2
	s_waitcnt vmcnt(9)
	ds_write_b128 v2, v[3:6]
	s_waitcnt vmcnt(8)
	ds_write_b128 v2, v[7:10] offset:528
	s_waitcnt vmcnt(7)
	ds_write_b128 v2, v[12:15] offset:1056
	;; [unrolled: 2-line block ×9, first 2 shown]
	v_cmpx_eq_u32_e32 32, v48
	s_cbranch_execz .LBB0_11
; %bb.10:
	v_add_co_u32 v0, s0, 0x1000, v0
	v_add_co_ci_u32_e64 v1, s0, 0, v1, s0
	v_mov_b32_e32 v48, 32
	global_load_dwordx4 v[3:6], v[0:1], off offset:1184
	s_waitcnt vmcnt(0)
	ds_write_b128 v2, v[3:6] offset:4768
.LBB0_11:
	s_or_b32 exec_lo, exec_lo, s4
.LBB0_12:
	s_or_b32 exec_lo, exec_lo, s1
	v_lshl_add_u32 v112, v11, 4, 0
	v_lshlrev_b32_e32 v0, 4, v48
	s_waitcnt lgkmcnt(0)
	s_barrier
	buffer_gl0_inv
	s_add_u32 s1, s8, 0x13f0
	v_add_nc_u32_e32 v114, v112, v0
	v_sub_nc_u32_e32 v10, v112, v0
	s_addc_u32 s4, s9, 0
	s_mov_b32 s5, exec_lo
	ds_read_b64 v[6:7], v114
	ds_read_b64 v[8:9], v10 offset:5280
                                        ; implicit-def: $vgpr4_vgpr5
	s_waitcnt lgkmcnt(0)
	v_add_f64 v[0:1], v[6:7], v[8:9]
	v_add_f64 v[2:3], v[6:7], -v[8:9]
	v_cmpx_ne_u32_e32 0, v48
	s_xor_b32 s5, exec_lo, s5
	s_cbranch_execz .LBB0_14
; %bb.13:
	v_mov_b32_e32 v49, 0
	v_add_f64 v[14:15], v[6:7], v[8:9]
	v_add_f64 v[16:17], v[6:7], -v[8:9]
	v_lshlrev_b64 v[0:1], 4, v[48:49]
	v_add_co_u32 v0, s0, s1, v0
	v_add_co_ci_u32_e64 v1, s0, s4, v1, s0
	global_load_dwordx4 v[2:5], v[0:1], off
	ds_read_b64 v[0:1], v10 offset:5288
	ds_read_b64 v[12:13], v114 offset:8
	s_waitcnt lgkmcnt(0)
	v_add_f64 v[6:7], v[0:1], v[12:13]
	v_add_f64 v[0:1], v[12:13], -v[0:1]
	s_waitcnt vmcnt(0)
	v_fma_f64 v[8:9], v[16:17], v[4:5], v[14:15]
	v_fma_f64 v[12:13], -v[16:17], v[4:5], v[14:15]
	v_fma_f64 v[14:15], v[6:7], v[4:5], -v[0:1]
	v_fma_f64 v[4:5], v[6:7], v[4:5], v[0:1]
	v_fma_f64 v[0:1], -v[6:7], v[2:3], v[8:9]
	v_fma_f64 v[6:7], v[6:7], v[2:3], v[12:13]
	v_fma_f64 v[8:9], v[16:17], v[2:3], v[14:15]
	;; [unrolled: 1-line block ×3, first 2 shown]
	v_mov_b32_e32 v4, v48
	v_mov_b32_e32 v5, v49
	ds_write_b128 v10, v[6:9] offset:5280
.LBB0_14:
	s_andn2_saveexec_b32 s0, s5
	s_cbranch_execz .LBB0_16
; %bb.15:
	ds_read_b128 v[4:7], v112 offset:2640
	s_waitcnt lgkmcnt(0)
	v_add_f64 v[12:13], v[4:5], v[4:5]
	v_mul_f64 v[14:15], v[6:7], -2.0
	v_mov_b32_e32 v4, 0
	v_mov_b32_e32 v5, 0
	ds_write_b128 v112, v[12:15] offset:2640
.LBB0_16:
	s_or_b32 exec_lo, exec_lo, s0
	v_lshlrev_b64 v[4:5], 4, v[4:5]
	v_lshl_add_u32 v115, v48, 4, 0
	s_mov_b32 s6, 0x8764f0ba
	s_mov_b32 s12, 0x8eee2c13
	;; [unrolled: 1-line block ×4, first 2 shown]
	v_add_co_u32 v8, s0, s1, v4
	v_add_co_ci_u32_e64 v9, s0, s4, v5, s0
	v_lshl_add_u32 v49, v11, 4, v115
	s_mov_b32 s4, 0xf8bb580b
	s_mov_b32 s5, 0xbfe14ced
	s_clause 0x2
	global_load_dwordx4 v[4:7], v[8:9], off offset:528
	global_load_dwordx4 v[12:15], v[8:9], off offset:1056
	;; [unrolled: 1-line block ×3, first 2 shown]
	v_add_co_u32 v8, s0, 0x800, v8
	v_add_co_ci_u32_e64 v9, s0, 0, v9, s0
	ds_write_b128 v114, v[0:3]
	ds_read_b128 v[0:3], v114 offset:528
	ds_read_b128 v[20:23], v10 offset:4752
	s_mov_b32 s14, 0xd9c712b6
	global_load_dwordx4 v[24:27], v[8:9], off offset:64
	s_mov_b32 s10, 0x43842ef
	s_mov_b32 s15, 0x3fda9628
	;; [unrolled: 1-line block ×13, first 2 shown]
	s_mov_b32 s33, exec_lo
	s_waitcnt lgkmcnt(0)
	v_add_f64 v[8:9], v[0:1], v[20:21]
	v_add_f64 v[28:29], v[22:23], v[2:3]
	v_add_f64 v[20:21], v[0:1], -v[20:21]
	v_add_f64 v[0:1], v[2:3], -v[22:23]
	s_waitcnt vmcnt(3)
	v_fma_f64 v[2:3], v[20:21], v[6:7], v[8:9]
	v_fma_f64 v[22:23], v[28:29], v[6:7], v[0:1]
	v_fma_f64 v[8:9], -v[20:21], v[6:7], v[8:9]
	v_fma_f64 v[30:31], v[28:29], v[6:7], -v[0:1]
	v_fma_f64 v[0:1], -v[28:29], v[4:5], v[2:3]
	v_fma_f64 v[2:3], v[20:21], v[4:5], v[22:23]
	v_fma_f64 v[6:7], v[28:29], v[4:5], v[8:9]
	v_fma_f64 v[8:9], v[20:21], v[4:5], v[30:31]
	ds_write_b128 v114, v[0:3] offset:528
	ds_write_b128 v10, v[6:9] offset:4752
	ds_read_b128 v[0:3], v114 offset:1056
	ds_read_b128 v[4:7], v10 offset:4224
	s_waitcnt lgkmcnt(0)
	v_add_f64 v[8:9], v[0:1], v[4:5]
	v_add_f64 v[20:21], v[6:7], v[2:3]
	v_add_f64 v[22:23], v[0:1], -v[4:5]
	v_add_f64 v[0:1], v[2:3], -v[6:7]
	s_waitcnt vmcnt(2)
	v_fma_f64 v[2:3], v[22:23], v[14:15], v[8:9]
	v_fma_f64 v[4:5], v[20:21], v[14:15], v[0:1]
	v_fma_f64 v[6:7], -v[22:23], v[14:15], v[8:9]
	v_fma_f64 v[8:9], v[20:21], v[14:15], -v[0:1]
	v_fma_f64 v[0:1], -v[20:21], v[12:13], v[2:3]
	v_fma_f64 v[2:3], v[22:23], v[12:13], v[4:5]
	v_fma_f64 v[4:5], v[20:21], v[12:13], v[6:7]
	v_fma_f64 v[6:7], v[22:23], v[12:13], v[8:9]
	ds_write_b128 v114, v[0:3] offset:1056
	ds_write_b128 v10, v[4:7] offset:4224
	ds_read_b128 v[0:3], v114 offset:1584
	ds_read_b128 v[4:7], v10 offset:3696
	;; [unrolled: 18-line block ×3, first 2 shown]
	s_waitcnt lgkmcnt(0)
	v_add_f64 v[8:9], v[0:1], v[4:5]
	v_add_f64 v[12:13], v[6:7], v[2:3]
	v_add_f64 v[14:15], v[0:1], -v[4:5]
	v_add_f64 v[0:1], v[2:3], -v[6:7]
	s_waitcnt vmcnt(0)
	v_fma_f64 v[2:3], v[14:15], v[26:27], v[8:9]
	v_fma_f64 v[4:5], v[12:13], v[26:27], v[0:1]
	v_fma_f64 v[6:7], -v[14:15], v[26:27], v[8:9]
	v_fma_f64 v[8:9], v[12:13], v[26:27], -v[0:1]
	v_fma_f64 v[0:1], -v[12:13], v[24:25], v[2:3]
	v_fma_f64 v[2:3], v[14:15], v[24:25], v[4:5]
	v_fma_f64 v[4:5], v[12:13], v[24:25], v[6:7]
	;; [unrolled: 1-line block ×3, first 2 shown]
	ds_write_b128 v114, v[0:3] offset:2112
	ds_write_b128 v10, v[4:7] offset:3168
	s_waitcnt lgkmcnt(0)
	s_barrier
	buffer_gl0_inv
	s_barrier
	buffer_gl0_inv
	ds_read_b128 v[4:7], v49 offset:4800
	ds_read_b128 v[24:27], v49 offset:480
	;; [unrolled: 1-line block ×3, first 2 shown]
	ds_read_b128 v[16:19], v114
	ds_read_b128 v[28:31], v49 offset:960
	ds_read_b128 v[36:39], v49 offset:1440
	;; [unrolled: 1-line block ×7, first 2 shown]
	s_waitcnt lgkmcnt(0)
	s_barrier
	buffer_gl0_inv
	v_add_f64 v[108:109], v[26:27], -v[6:7]
	v_add_f64 v[100:101], v[24:25], -v[4:5]
	v_add_f64 v[104:105], v[24:25], v[4:5]
	v_add_f64 v[96:97], v[30:31], -v[10:11]
	v_add_f64 v[110:111], v[26:27], v[6:7]
	;; [unrolled: 2-line block ×3, first 2 shown]
	v_add_f64 v[92:93], v[30:31], v[10:11]
	v_add_f64 v[80:81], v[38:39], -v[14:15]
	v_add_f64 v[76:77], v[36:37], -v[12:13]
	v_add_f64 v[68:69], v[36:37], v[12:13]
	v_add_f64 v[94:95], v[38:39], v[14:15]
	v_add_f64 v[70:71], v[46:47], -v[22:23]
	v_add_f64 v[54:55], v[44:45], -v[20:21]
	v_add_f64 v[56:57], v[44:45], v[20:21]
	;; [unrolled: 4-line block ×3, first 2 shown]
	v_mul_f64 v[102:103], v[108:109], s[4:5]
	v_mul_f64 v[106:107], v[100:101], s[4:5]
	;; [unrolled: 1-line block ×9, first 2 shown]
	v_fma_f64 v[0:1], v[104:105], s[6:7], v[102:103]
	v_fma_f64 v[2:3], v[110:111], s[6:7], -v[106:107]
	v_fma_f64 v[58:59], v[74:75], s[14:15], v[84:85]
	v_fma_f64 v[60:61], v[92:93], s[14:15], -v[90:91]
	;; [unrolled: 2-line block ×4, first 2 shown]
	v_add_f64 v[0:1], v[16:17], v[0:1]
	v_add_f64 v[2:3], v[18:19], v[2:3]
	v_add_f64 v[0:1], v[58:59], v[0:1]
	v_add_f64 v[2:3], v[60:61], v[2:3]
	v_add_f64 v[58:59], v[40:41], v[32:33]
	v_mul_f64 v[60:61], v[66:67], s[24:25]
	v_add_f64 v[0:1], v[116:117], v[0:1]
	v_add_f64 v[2:3], v[118:119], v[2:3]
	v_fma_f64 v[118:119], v[82:83], s[22:23], -v[62:63]
	v_fma_f64 v[116:117], v[58:59], s[22:23], v[60:61]
	v_add_f64 v[0:1], v[120:121], v[0:1]
	v_add_f64 v[2:3], v[122:123], v[2:3]
	;; [unrolled: 1-line block ×4, first 2 shown]
	v_cmpx_gt_u32_e32 30, v48
	s_cbranch_execz .LBB0_18
; %bb.17:
	v_add_f64 v[26:27], v[18:19], v[26:27]
	v_add_f64 v[24:25], v[16:17], v[24:25]
	v_mul_f64 v[118:119], v[110:111], s[18:19]
	s_mov_b32 s27, 0x3fefac9e
	s_mov_b32 s26, s10
	;; [unrolled: 1-line block ×8, first 2 shown]
	v_mul_f64 v[116:117], v[110:111], s[6:7]
	s_mov_b32 s31, 0x3fe14ced
	s_mov_b32 s30, s4
	v_add_f64 v[26:27], v[26:27], v[30:31]
	v_add_f64 v[24:25], v[24:25], v[28:29]
	v_mul_f64 v[28:29], v[110:111], s[22:23]
	v_mul_f64 v[30:31], v[108:109], s[24:25]
	v_fma_f64 v[126:127], v[100:101], s[26:27], v[118:119]
	v_add_f64 v[106:107], v[106:107], v[116:117]
	v_mul_f64 v[116:117], v[92:93], s[6:7]
	v_add_f64 v[26:27], v[26:27], v[38:39]
	v_add_f64 v[24:25], v[24:25], v[36:37]
	v_mul_f64 v[36:37], v[110:111], s[20:21]
	v_mul_f64 v[38:39], v[108:109], s[16:17]
	v_fma_f64 v[120:121], v[104:105], s[22:23], v[30:31]
	v_fma_f64 v[30:31], v[104:105], s[22:23], -v[30:31]
	v_add_f64 v[126:127], v[18:19], v[126:127]
	v_add_f64 v[26:27], v[26:27], v[46:47]
	;; [unrolled: 1-line block ×3, first 2 shown]
	v_mul_f64 v[44:45], v[108:109], s[10:11]
	v_mul_f64 v[46:47], v[110:111], s[14:15]
	;; [unrolled: 1-line block ×3, first 2 shown]
	v_fma_f64 v[110:111], v[100:101], s[34:35], v[28:29]
	v_fma_f64 v[28:29], v[100:101], s[24:25], v[28:29]
	;; [unrolled: 1-line block ×5, first 2 shown]
	v_fma_f64 v[38:39], v[104:105], s[20:21], -v[38:39]
	v_add_f64 v[120:121], v[16:17], v[120:121]
	v_add_f64 v[30:31], v[16:17], v[30:31]
	;; [unrolled: 1-line block ×4, first 2 shown]
	v_fma_f64 v[40:41], v[104:105], s[18:19], v[44:45]
	v_fma_f64 v[42:43], v[100:101], s[10:11], v[118:119]
	v_fma_f64 v[44:45], v[104:105], s[18:19], -v[44:45]
	v_fma_f64 v[118:119], v[100:101], s[28:29], v[46:47]
	v_fma_f64 v[46:47], v[100:101], s[12:13], v[46:47]
	;; [unrolled: 1-line block ×3, first 2 shown]
	v_fma_f64 v[108:109], v[104:105], s[14:15], -v[108:109]
	v_mul_f64 v[104:105], v[104:105], s[6:7]
	v_add_f64 v[110:111], v[18:19], v[110:111]
	v_add_f64 v[28:29], v[18:19], v[28:29]
	;; [unrolled: 1-line block ×8, first 2 shown]
	v_mul_f64 v[32:33], v[92:93], s[22:23]
	v_mul_f64 v[34:35], v[92:93], s[20:21]
	v_add_f64 v[40:41], v[16:17], v[40:41]
	v_add_f64 v[42:43], v[18:19], v[42:43]
	;; [unrolled: 1-line block ×5, first 2 shown]
	v_add_f64 v[102:103], v[104:105], -v[102:103]
	v_mul_f64 v[104:105], v[92:93], s[18:19]
	v_add_f64 v[46:47], v[18:19], v[46:47]
	v_add_f64 v[108:109], v[16:17], v[108:109]
	;; [unrolled: 1-line block ×3, first 2 shown]
	v_fma_f64 v[106:107], v[98:99], s[30:31], v[116:117]
	v_mul_f64 v[92:93], v[92:93], s[14:15]
	v_add_f64 v[22:23], v[26:27], v[22:23]
	v_add_f64 v[20:21], v[24:25], v[20:21]
	v_fma_f64 v[24:25], v[98:99], s[24:25], v[32:33]
	v_fma_f64 v[26:27], v[98:99], s[34:35], v[32:33]
	;; [unrolled: 1-line block ×4, first 2 shown]
	v_add_f64 v[16:17], v[16:17], v[102:103]
	v_fma_f64 v[102:103], v[98:99], s[4:5], v[116:117]
	v_fma_f64 v[116:117], v[98:99], s[10:11], v[104:105]
	;; [unrolled: 1-line block ×3, first 2 shown]
	v_mul_f64 v[98:99], v[96:97], s[30:31]
	v_add_f64 v[28:29], v[106:107], v[28:29]
	v_mul_f64 v[106:107], v[80:81], s[16:17]
	v_add_f64 v[90:91], v[90:91], v[92:93]
	;; [unrolled: 2-line block ×3, first 2 shown]
	v_add_f64 v[12:13], v[20:21], v[12:13]
	v_mul_f64 v[22:23], v[96:97], s[26:27]
	v_add_f64 v[26:27], v[26:27], v[42:43]
	v_add_f64 v[24:25], v[24:25], v[126:127]
	v_mul_f64 v[126:127], v[94:95], s[14:15]
	v_add_f64 v[34:35], v[34:35], v[46:47]
	v_mul_f64 v[46:47], v[88:89], s[6:7]
	v_add_f64 v[32:33], v[32:33], v[118:119]
	v_add_f64 v[102:103], v[102:103], v[110:111]
	v_mul_f64 v[110:111], v[94:95], s[20:21]
	v_add_f64 v[116:117], v[116:117], v[122:123]
	v_fma_f64 v[20:21], v[74:75], s[6:7], v[98:99]
	v_fma_f64 v[98:99], v[74:75], s[6:7], -v[98:99]
	v_add_f64 v[36:37], v[104:105], v[36:37]
	v_fma_f64 v[104:105], v[68:69], s[20:21], v[106:107]
	v_fma_f64 v[106:107], v[68:69], s[20:21], -v[106:107]
	v_add_f64 v[18:19], v[90:91], v[18:19]
	v_add_f64 v[64:65], v[92:93], -v[64:65]
	v_mul_f64 v[90:91], v[66:67], s[28:29]
	v_fma_f64 v[122:123], v[76:77], s[0:1], v[110:111]
	v_fma_f64 v[110:111], v[76:77], s[16:17], v[110:111]
	v_add_f64 v[20:21], v[20:21], v[120:121]
	v_fma_f64 v[120:121], v[74:75], s[18:19], v[22:23]
	v_fma_f64 v[22:23], v[74:75], s[18:19], -v[22:23]
	v_add_f64 v[30:31], v[98:99], v[30:31]
	v_mul_f64 v[98:99], v[94:95], s[6:7]
	v_add_f64 v[102:103], v[122:123], v[102:103]
	v_add_f64 v[28:29], v[110:111], v[28:29]
	v_add_f64 v[20:21], v[104:105], v[20:21]
	v_add_f64 v[120:121], v[120:121], v[124:125]
	v_mul_f64 v[124:125], v[80:81], s[4:5]
	v_add_f64 v[22:23], v[22:23], v[38:39]
	v_mul_f64 v[38:39], v[88:89], s[14:15]
	v_fma_f64 v[42:43], v[76:77], s[30:31], v[98:99]
	v_fma_f64 v[98:99], v[76:77], s[4:5], v[98:99]
	v_mul_f64 v[104:105], v[70:71], s[28:29]
	v_mul_f64 v[110:111], v[88:89], s[22:23]
	v_add_f64 v[30:31], v[106:107], v[30:31]
	v_fma_f64 v[106:107], v[76:77], s[12:13], v[126:127]
	v_fma_f64 v[126:127], v[76:77], s[28:29], v[126:127]
	v_fma_f64 v[122:123], v[68:69], s[6:7], v[124:125]
	v_fma_f64 v[124:125], v[68:69], s[6:7], -v[124:125]
	v_add_f64 v[42:43], v[42:43], v[116:117]
	v_fma_f64 v[116:117], v[54:55], s[12:13], v[38:39]
	v_add_f64 v[36:37], v[98:99], v[36:37]
	v_fma_f64 v[98:99], v[56:57], s[14:15], v[104:105]
	v_fma_f64 v[38:39], v[54:55], s[28:29], v[38:39]
	v_fma_f64 v[104:105], v[56:57], s[14:15], -v[104:105]
	v_add_f64 v[24:25], v[106:107], v[24:25]
	v_fma_f64 v[106:107], v[54:55], s[34:35], v[110:111]
	v_fma_f64 v[110:111], v[54:55], s[24:25], v[110:111]
	v_add_f64 v[26:27], v[126:127], v[26:27]
	v_mul_f64 v[126:127], v[88:89], s[20:21]
	v_mul_f64 v[88:89], v[88:89], s[18:19]
	v_add_f64 v[120:121], v[122:123], v[120:121]
	v_add_f64 v[22:23], v[124:125], v[22:23]
	v_mul_f64 v[124:125], v[96:97], s[34:35]
	v_mul_f64 v[122:123], v[70:71], s[24:25]
	v_add_f64 v[102:103], v[116:117], v[102:103]
	v_mul_f64 v[96:97], v[96:97], s[16:17]
	v_add_f64 v[20:21], v[98:99], v[20:21]
	v_add_f64 v[28:29], v[38:39], v[28:29]
	v_mul_f64 v[38:39], v[74:75], s[14:15]
	v_add_f64 v[30:31], v[104:105], v[30:31]
	v_mul_f64 v[104:105], v[94:95], s[22:23]
	v_mul_f64 v[94:95], v[94:95], s[18:19]
	v_add_f64 v[42:43], v[106:107], v[42:43]
	v_mul_f64 v[106:107], v[80:81], s[34:35]
	;; [unrolled: 3-line block ×3, first 2 shown]
	v_add_f64 v[72:73], v[72:73], v[126:127]
	v_fma_f64 v[126:127], v[54:55], s[26:27], v[88:89]
	v_fma_f64 v[98:99], v[74:75], s[22:23], v[124:125]
	;; [unrolled: 1-line block ×3, first 2 shown]
	v_fma_f64 v[124:125], v[74:75], s[22:23], -v[124:125]
	v_fma_f64 v[122:123], v[56:57], s[22:23], -v[122:123]
	v_add_f64 v[38:39], v[38:39], -v[84:85]
	v_mul_f64 v[84:85], v[58:59], s[22:23]
	v_add_f64 v[86:87], v[86:87], v[94:95]
	v_fma_f64 v[118:119], v[52:53], s[26:27], v[110:111]
	v_fma_f64 v[110:111], v[52:53], s[10:11], v[110:111]
	v_add_f64 v[40:41], v[98:99], v[40:41]
	v_mul_f64 v[98:99], v[68:69], s[18:19]
	v_add_f64 v[116:117], v[116:117], v[120:121]
	v_fma_f64 v[120:121], v[74:75], s[20:21], -v[96:97]
	v_fma_f64 v[74:75], v[74:75], s[20:21], v[96:97]
	v_fma_f64 v[96:97], v[76:77], s[24:25], v[104:105]
	;; [unrolled: 1-line block ×3, first 2 shown]
	v_add_f64 v[16:17], v[38:39], v[16:17]
	v_add_f64 v[44:45], v[124:125], v[44:45]
	v_fma_f64 v[38:39], v[68:69], s[14:15], v[80:81]
	v_fma_f64 v[80:81], v[68:69], s[14:15], -v[80:81]
	v_add_f64 v[122:123], v[122:123], v[22:23]
	v_mul_f64 v[22:23], v[66:67], s[10:11]
	v_mul_f64 v[124:125], v[82:83], s[14:15]
	;; [unrolled: 1-line block ×3, first 2 shown]
	v_add_f64 v[18:19], v[86:87], v[18:19]
	v_add_f64 v[60:61], v[84:85], -v[60:61]
	v_add_f64 v[84:85], v[14:15], v[10:11]
	v_fma_f64 v[86:87], v[58:59], s[14:15], v[90:91]
	v_fma_f64 v[90:91], v[58:59], s[14:15], -v[90:91]
	v_add_f64 v[14:15], v[110:111], v[28:29]
	v_add_f64 v[10:11], v[118:119], v[102:103]
	v_add_f64 v[78:79], v[98:99], -v[78:79]
	v_mul_f64 v[98:99], v[70:71], s[4:5]
	v_add_f64 v[108:109], v[120:121], v[108:109]
	v_fma_f64 v[120:121], v[68:69], s[22:23], -v[106:107]
	v_mul_f64 v[70:71], v[70:71], s[26:27]
	v_fma_f64 v[68:69], v[68:69], s[22:23], v[106:107]
	v_add_f64 v[74:75], v[74:75], v[100:101]
	v_mul_f64 v[100:101], v[82:83], s[20:21]
	v_add_f64 v[34:35], v[76:77], v[34:35]
	v_mul_f64 v[82:83], v[82:83], s[6:7]
	v_fma_f64 v[76:77], v[54:55], s[30:31], v[46:47]
	v_fma_f64 v[46:47], v[54:55], s[4:5], v[46:47]
	v_add_f64 v[44:45], v[80:81], v[44:45]
	v_add_f64 v[38:39], v[38:39], v[40:41]
	v_fma_f64 v[40:41], v[54:55], s[10:11], v[88:89]
	v_add_f64 v[32:33], v[96:97], v[32:33]
	v_add_f64 v[88:89], v[12:13], v[8:9]
	v_fma_f64 v[94:95], v[58:59], s[18:19], v[22:23]
	v_fma_f64 v[22:23], v[58:59], s[18:19], -v[22:23]
	v_add_f64 v[62:63], v[62:63], v[104:105]
	v_add_f64 v[72:73], v[72:73], v[18:19]
	v_fma_f64 v[106:107], v[52:53], s[12:13], v[124:125]
	v_add_f64 v[16:17], v[78:79], v[16:17]
	v_fma_f64 v[92:93], v[56:57], s[6:7], -v[98:99]
	v_fma_f64 v[80:81], v[56:57], s[6:7], v[98:99]
	v_add_f64 v[108:109], v[120:121], v[108:109]
	v_mul_f64 v[120:121], v[66:67], s[16:17]
	v_mul_f64 v[66:67], v[66:67], s[30:31]
	v_fma_f64 v[78:79], v[56:57], s[18:19], -v[70:71]
	v_fma_f64 v[54:55], v[56:57], s[18:19], v[70:71]
	v_add_f64 v[56:57], v[68:69], v[74:75]
	v_fma_f64 v[74:75], v[52:53], s[30:31], v[82:83]
	v_add_f64 v[34:35], v[126:127], v[34:35]
	v_add_f64 v[70:71], v[76:77], v[24:25]
	v_fma_f64 v[24:25], v[52:53], s[16:17], v[100:101]
	v_add_f64 v[26:27], v[46:47], v[26:27]
	v_fma_f64 v[124:125], v[52:53], s[28:29], v[124:125]
	v_fma_f64 v[68:69], v[52:53], s[0:1], v[100:101]
	v_fma_f64 v[52:53], v[52:53], s[4:5], v[82:83]
	v_add_f64 v[40:41], v[40:41], v[32:33]
	v_add_f64 v[6:7], v[84:85], v[6:7]
	;; [unrolled: 1-line block ×9, first 2 shown]
	v_fma_f64 v[46:47], v[58:59], s[20:21], -v[120:121]
	v_fma_f64 v[76:77], v[58:59], s[6:7], -v[66:67]
	v_add_f64 v[64:65], v[78:79], v[108:109]
	v_fma_f64 v[78:79], v[58:59], s[20:21], v[120:121]
	v_fma_f64 v[58:59], v[58:59], s[6:7], v[66:67]
	v_add_f64 v[54:55], v[54:55], v[56:57]
	v_add_f64 v[30:31], v[74:75], v[34:35]
	;; [unrolled: 1-line block ×11, first 2 shown]
	v_mul_u32_u24_e32 v44, 0xa0, v48
	v_add_f64 v[28:29], v[76:77], v[64:65]
	v_add_f64 v[36:37], v[78:79], v[80:81]
	;; [unrolled: 1-line block ×3, first 2 shown]
	v_add3_u32 v44, v115, v44, v113
	ds_write_b128 v44, v[4:7]
	ds_write_b128 v44, v[32:35] offset:16
	ds_write_b128 v44, v[28:31] offset:32
	;; [unrolled: 1-line block ×10, first 2 shown]
.LBB0_18:
	s_or_b32 exec_lo, exec_lo, s33
	v_and_b32_e32 v4, 0xff, v48
	v_mov_b32_e32 v6, 9
	s_waitcnt lgkmcnt(0)
	s_barrier
	buffer_gl0_inv
	v_mul_lo_u16 v4, 0x75, v4
	s_mov_b32 s0, 0x134454ff
	s_mov_b32 s1, 0x3fee6f0e
	s_mov_b32 s11, 0xbfee6f0e
	s_mov_b32 s10, s0
	v_lshrrev_b16 v4, 8, v4
	s_mov_b32 s4, 0x4755a5e
	s_mov_b32 s5, 0x3fe2cf23
	;; [unrolled: 1-line block ×4, first 2 shown]
	v_sub_nc_u16 v5, v48, v4
	s_mov_b32 s6, 0x372fe950
	s_mov_b32 s7, 0x3fd3c6ef
	;; [unrolled: 1-line block ×4, first 2 shown]
	v_lshrrev_b16 v5, 1, v5
	v_mov_b32_e32 v47, 4
	v_and_b32_e32 v5, 0x7f, v5
	v_add_nc_u16 v4, v5, v4
	v_lshrrev_b16 v4, 3, v4
	v_mul_lo_u16 v5, v4, 11
	v_sub_nc_u16 v8, v48, v5
	v_mul_u32_u24_sdwa v5, v8, v6 dst_sel:DWORD dst_unused:UNUSED_PAD src0_sel:BYTE_0 src1_sel:DWORD
	v_lshlrev_b32_sdwa v8, v47, v8 dst_sel:DWORD dst_unused:UNUSED_PAD src0_sel:DWORD src1_sel:BYTE_0
	v_lshlrev_b32_e32 v5, 4, v5
	s_clause 0x8
	global_load_dwordx4 v[9:12], v5, s[8:9] offset:32
	global_load_dwordx4 v[13:16], v5, s[8:9] offset:64
	;; [unrolled: 1-line block ×4, first 2 shown]
	global_load_dwordx4 v[25:28], v5, s[8:9]
	global_load_dwordx4 v[29:32], v5, s[8:9] offset:16
	global_load_dwordx4 v[33:36], v5, s[8:9] offset:48
	;; [unrolled: 1-line block ×4, first 2 shown]
	ds_read_b128 v[52:55], v49 offset:1584
	ds_read_b128 v[56:59], v49 offset:2640
	;; [unrolled: 1-line block ×9, first 2 shown]
	s_waitcnt vmcnt(8) lgkmcnt(8)
	v_mul_f64 v[5:6], v[54:55], v[11:12]
	v_mul_f64 v[11:12], v[52:53], v[11:12]
	s_waitcnt vmcnt(7) lgkmcnt(7)
	v_mul_f64 v[45:46], v[58:59], v[15:16]
	v_mul_f64 v[15:16], v[56:57], v[15:16]
	;; [unrolled: 3-line block ×8, first 2 shown]
	s_waitcnt vmcnt(0) lgkmcnt(0)
	v_mul_f64 v[100:101], v[84:85], v[43:44]
	v_fma_f64 v[5:6], v[52:53], v[9:10], -v[5:6]
	v_fma_f64 v[52:53], v[54:55], v[9:10], v[11:12]
	v_fma_f64 v[45:46], v[56:57], v[13:14], -v[45:46]
	v_fma_f64 v[13:14], v[58:59], v[13:14], v[15:16]
	;; [unrolled: 2-line block ×3, first 2 shown]
	v_fma_f64 v[19:20], v[66:67], v[21:22], v[90:91]
	v_fma_f64 v[21:22], v[64:65], v[21:22], -v[23:24]
	v_mul_f64 v[23:24], v[86:87], v[43:44]
	v_fma_f64 v[54:55], v[68:69], v[25:26], -v[92:93]
	v_fma_f64 v[25:26], v[70:71], v[25:26], v[27:28]
	v_fma_f64 v[43:44], v[72:73], v[29:30], -v[94:95]
	v_fma_f64 v[29:30], v[74:75], v[29:30], v[31:32]
	;; [unrolled: 2-line block ×4, first 2 shown]
	v_fma_f64 v[39:40], v[86:87], v[41:42], v[100:101]
	ds_read_b128 v[9:12], v114
	s_waitcnt lgkmcnt(0)
	s_barrier
	buffer_gl0_inv
	v_add_f64 v[94:95], v[5:6], -v[45:46]
	v_add_f64 v[98:99], v[45:46], -v[5:6]
	v_add_f64 v[27:28], v[45:46], v[15:16]
	v_add_f64 v[56:57], v[13:14], v[17:18]
	;; [unrolled: 1-line block ×4, first 2 shown]
	v_fma_f64 v[23:24], v[84:85], v[41:42], -v[23:24]
	v_add_f64 v[68:69], v[52:53], -v[19:20]
	v_add_f64 v[70:71], v[13:14], -v[17:18]
	;; [unrolled: 1-line block ×6, first 2 shown]
	v_add_f64 v[62:63], v[31:32], v[35:36]
	v_add_f64 v[88:89], v[33:34], v[37:38]
	;; [unrolled: 1-line block ×3, first 2 shown]
	v_add_f64 v[102:103], v[52:53], -v[13:14]
	v_add_f64 v[104:105], v[19:20], -v[17:18]
	;; [unrolled: 1-line block ×4, first 2 shown]
	v_add_f64 v[41:42], v[9:10], v[43:44]
	v_add_f64 v[86:87], v[11:12], v[29:30]
	v_add_f64 v[5:6], v[54:55], v[5:6]
	v_add_f64 v[64:65], v[29:30], -v[39:40]
	v_fma_f64 v[27:28], v[27:28], -0.5, v[54:55]
	v_fma_f64 v[56:57], v[56:57], -0.5, v[25:26]
	;; [unrolled: 1-line block ×4, first 2 shown]
	v_add_f64 v[80:81], v[43:44], v[23:24]
	v_add_f64 v[25:26], v[25:26], v[52:53]
	v_add_f64 v[66:67], v[33:34], -v[37:38]
	v_add_f64 v[76:77], v[43:44], -v[31:32]
	;; [unrolled: 1-line block ×7, first 2 shown]
	v_fma_f64 v[52:53], v[62:63], -0.5, v[9:10]
	v_fma_f64 v[54:55], v[88:89], -0.5, v[11:12]
	;; [unrolled: 1-line block ×3, first 2 shown]
	v_add_f64 v[62:63], v[94:95], v[96:97]
	v_add_f64 v[88:89], v[102:103], v[104:105]
	;; [unrolled: 1-line block ×3, first 2 shown]
	v_add_f64 v[121:122], v[29:30], -v[33:34]
	v_add_f64 v[29:30], v[33:34], -v[29:30]
	v_add_f64 v[31:32], v[41:42], v[31:32]
	v_fma_f64 v[119:120], v[68:69], s[10:11], v[27:28]
	v_fma_f64 v[110:111], v[72:73], s[10:11], v[56:57]
	;; [unrolled: 1-line block ×8, first 2 shown]
	v_fma_f64 v[9:10], v[80:81], -0.5, v[9:10]
	v_add_f64 v[80:81], v[98:99], v[100:101]
	v_add_f64 v[33:34], v[86:87], v[33:34]
	v_add_f64 v[5:6], v[5:6], v[45:46]
	v_add_f64 v[13:14], v[25:26], v[13:14]
	v_add_f64 v[123:124], v[39:40], -v[37:38]
	v_add_f64 v[41:42], v[76:77], v[78:79]
	v_fma_f64 v[25:26], v[64:65], s[0:1], v[52:53]
	v_fma_f64 v[45:46], v[64:65], s[10:11], v[52:53]
	v_add_f64 v[125:126], v[37:38], -v[39:40]
	v_add_f64 v[31:32], v[31:32], v[35:36]
	v_fma_f64 v[100:101], v[70:71], s[12:13], v[119:120]
	v_fma_f64 v[94:95], v[74:75], s[12:13], v[110:111]
	;; [unrolled: 1-line block ×8, first 2 shown]
	v_add_f64 v[68:69], v[82:83], v[84:85]
	v_fma_f64 v[52:53], v[66:67], s[10:11], v[9:10]
	v_fma_f64 v[9:10], v[66:67], s[0:1], v[9:10]
	;; [unrolled: 1-line block ×6, first 2 shown]
	v_add_f64 v[33:34], v[33:34], v[37:38]
	v_add_f64 v[5:6], v[5:6], v[15:16]
	;; [unrolled: 1-line block ×3, first 2 shown]
	v_fma_f64 v[15:16], v[66:67], s[4:5], v[25:26]
	v_fma_f64 v[17:18], v[66:67], s[12:13], v[45:46]
	v_add_f64 v[29:30], v[29:30], v[125:126]
	v_add_f64 v[23:24], v[31:32], v[23:24]
	v_fma_f64 v[82:83], v[62:63], s[6:7], v[100:101]
	v_fma_f64 v[74:75], v[88:89], s[6:7], v[94:95]
	;; [unrolled: 1-line block ×8, first 2 shown]
	v_add_f64 v[62:63], v[121:122], v[123:124]
	v_fma_f64 v[25:26], v[64:65], s[4:5], v[52:53]
	v_fma_f64 v[9:10], v[64:65], s[12:13], v[9:10]
	;; [unrolled: 1-line block ×6, first 2 shown]
	v_add_f64 v[31:32], v[33:34], v[39:40]
	v_add_f64 v[5:6], v[5:6], v[21:22]
	;; [unrolled: 1-line block ×3, first 2 shown]
	v_fma_f64 v[33:34], v[41:42], s[6:7], v[15:16]
	v_fma_f64 v[39:40], v[41:42], s[6:7], v[17:18]
	v_mul_f64 v[64:65], v[82:83], s[14:15]
	v_mul_f64 v[43:44], v[74:75], s[4:5]
	;; [unrolled: 1-line block ×8, first 2 shown]
	v_fma_f64 v[41:42], v[68:69], s[6:7], v[25:26]
	v_fma_f64 v[68:69], v[68:69], s[6:7], v[9:10]
	;; [unrolled: 1-line block ×6, first 2 shown]
	v_add_f64 v[9:10], v[23:24], v[5:6]
	v_add_f64 v[11:12], v[31:32], v[19:20]
	v_add_f64 v[13:14], v[23:24], -v[5:6]
	v_add_f64 v[15:16], v[31:32], -v[19:20]
	v_fma_f64 v[37:38], v[27:28], s[14:15], v[43:44]
	v_fma_f64 v[43:44], v[60:61], s[6:7], v[52:53]
	v_fma_f64 v[52:53], v[58:59], s[0:1], -v[54:55]
	v_fma_f64 v[54:55], v[56:57], s[4:5], -v[64:65]
	v_fma_f64 v[56:57], v[74:75], s[14:15], v[66:67]
	v_fma_f64 v[58:59], v[76:77], s[6:7], v[70:71]
	v_fma_f64 v[60:61], v[78:79], s[10:11], -v[72:73]
	v_fma_f64 v[64:65], v[82:83], s[12:13], -v[80:81]
	v_and_b32_e32 v66, 0xffff, v4
	v_cmp_gt_u32_e64 s0, 11, v48
	v_add_f64 v[17:18], v[33:34], v[37:38]
	v_add_f64 v[21:22], v[41:42], v[43:44]
	;; [unrolled: 1-line block ×8, first 2 shown]
	v_add_f64 v[33:34], v[33:34], -v[37:38]
	v_add_f64 v[35:36], v[35:36], -v[56:57]
	;; [unrolled: 1-line block ×8, first 2 shown]
	v_mad_u32_u24 v45, 0x6e0, v66, 0
	v_add3_u32 v8, v45, v8, v113
	ds_write_b128 v8, v[9:12]
	ds_write_b128 v8, v[13:16] offset:880
	ds_write_b128 v8, v[17:20] offset:176
	;; [unrolled: 1-line block ×9, first 2 shown]
	s_waitcnt lgkmcnt(0)
	s_barrier
	buffer_gl0_inv
	ds_read_b128 v[20:23], v114
	ds_read_b128 v[12:15], v49 offset:528
	ds_read_b128 v[36:39], v49 offset:3520
	ds_read_b128 v[24:27], v49 offset:4048
	ds_read_b128 v[44:47], v49 offset:1760
	ds_read_b128 v[16:19], v49 offset:1056
	ds_read_b128 v[40:43], v49 offset:2288
	ds_read_b128 v[28:31], v49 offset:2816
	ds_read_b128 v[32:35], v49 offset:4576
                                        ; implicit-def: $vgpr10_vgpr11
	s_and_saveexec_b32 s1, s0
	s_cbranch_execz .LBB0_20
; %bb.19:
	ds_read_b128 v[4:7], v49 offset:1584
	ds_read_b128 v[0:3], v49 offset:3344
	;; [unrolled: 1-line block ×3, first 2 shown]
.LBB0_20:
	s_or_b32 exec_lo, exec_lo, s1
	v_lshlrev_b32_e32 v52, 1, v48
	v_mov_b32_e32 v53, 0
	s_mov_b32 s4, 0xe8584caa
	s_mov_b32 s5, 0x3febb67a
	;; [unrolled: 1-line block ×3, first 2 shown]
	v_add_nc_u32_e32 v56, 0x42, v52
	v_mov_b32_e32 v57, v53
	v_lshlrev_b64 v[54:55], 4, v[52:53]
	v_add_nc_u32_e32 v52, 0x84, v52
	s_mov_b32 s6, s4
	v_lshlrev_b64 v[62:63], 4, v[56:57]
	v_add_co_u32 v58, s1, s8, v54
	v_lshlrev_b64 v[64:65], 4, v[52:53]
	v_add_co_ci_u32_e64 v59, s1, s9, v55, s1
	v_add_co_u32 v66, s1, s8, v62
	v_add_co_ci_u32_e64 v67, s1, s9, v63, s1
	v_add_co_u32 v74, s1, s8, v64
	s_clause 0x1
	global_load_dwordx4 v[54:57], v[58:59], off offset:1600
	global_load_dwordx4 v[58:61], v[58:59], off offset:1584
	v_add_co_ci_u32_e64 v75, s1, s9, v65, s1
	s_clause 0x3
	global_load_dwordx4 v[62:65], v[66:67], off offset:1584
	global_load_dwordx4 v[66:69], v[66:67], off offset:1600
	;; [unrolled: 1-line block ×4, first 2 shown]
	s_waitcnt vmcnt(0) lgkmcnt(0)
	s_barrier
	buffer_gl0_inv
	v_mul_f64 v[80:81], v[38:39], v[56:57]
	v_mul_f64 v[78:79], v[46:47], v[60:61]
	;; [unrolled: 1-line block ×12, first 2 shown]
	v_fma_f64 v[36:37], v[36:37], v[54:55], -v[80:81]
	v_fma_f64 v[44:45], v[44:45], v[58:59], -v[78:79]
	v_fma_f64 v[46:47], v[46:47], v[58:59], v[60:61]
	v_fma_f64 v[38:39], v[38:39], v[54:55], v[56:57]
	v_fma_f64 v[40:41], v[40:41], v[62:63], -v[82:83]
	v_fma_f64 v[24:25], v[24:25], v[66:67], -v[84:85]
	v_fma_f64 v[42:43], v[42:43], v[62:63], v[64:65]
	v_fma_f64 v[26:27], v[26:27], v[66:67], v[68:69]
	v_fma_f64 v[28:29], v[28:29], v[70:71], -v[86:87]
	v_fma_f64 v[32:33], v[32:33], v[74:75], -v[88:89]
	v_fma_f64 v[30:31], v[30:31], v[70:71], v[72:73]
	v_fma_f64 v[34:35], v[34:35], v[74:75], v[76:77]
	v_add_f64 v[54:55], v[44:45], v[36:37]
	v_add_f64 v[66:67], v[20:21], v[44:45]
	;; [unrolled: 1-line block ×3, first 2 shown]
	v_add_f64 v[68:69], v[46:47], -v[38:39]
	v_add_f64 v[58:59], v[40:41], v[24:25]
	v_add_f64 v[46:47], v[22:23], v[46:47]
	;; [unrolled: 1-line block ×9, first 2 shown]
	v_add_f64 v[44:45], v[44:45], -v[36:37]
	v_add_f64 v[42:43], v[42:43], -v[26:27]
	;; [unrolled: 1-line block ×5, first 2 shown]
	v_fma_f64 v[54:55], v[54:55], -0.5, v[20:21]
	v_fma_f64 v[56:57], v[56:57], -0.5, v[22:23]
	;; [unrolled: 1-line block ×3, first 2 shown]
	v_add_f64 v[12:13], v[66:67], v[36:37]
	v_fma_f64 v[60:61], v[60:61], -0.5, v[14:15]
	v_add_f64 v[14:15], v[46:47], v[38:39]
	v_fma_f64 v[62:63], v[62:63], -0.5, v[16:17]
	;; [unrolled: 2-line block ×3, first 2 shown]
	v_add_f64 v[18:19], v[72:73], v[26:27]
	v_add_f64 v[20:21], v[74:75], v[32:33]
	;; [unrolled: 1-line block ×3, first 2 shown]
	v_fma_f64 v[24:25], v[68:69], s[4:5], v[54:55]
	v_fma_f64 v[28:29], v[68:69], s[6:7], v[54:55]
	;; [unrolled: 1-line block ×12, first 2 shown]
	ds_write_b128 v49, v[12:15]
	ds_write_b128 v49, v[16:19] offset:528
	ds_write_b128 v49, v[20:23] offset:1056
	ds_write_b128 v49, v[24:27] offset:1760
	ds_write_b128 v49, v[28:31] offset:3520
	ds_write_b128 v49, v[32:35] offset:2288
	ds_write_b128 v49, v[36:39] offset:4048
	ds_write_b128 v49, v[40:43] offset:2816
	ds_write_b128 v49, v[44:47] offset:4576
	s_and_saveexec_b32 s1, s0
	s_cbranch_execz .LBB0_22
; %bb.21:
	v_cndmask_b32_e64 v12, -11, 0x63, s0
	v_add_lshl_u32 v52, v48, v12, 1
	v_lshlrev_b64 v[12:13], 4, v[52:53]
	v_add_co_u32 v16, s0, s8, v12
	v_add_co_ci_u32_e64 v17, s0, s9, v13, s0
	s_clause 0x1
	global_load_dwordx4 v[12:15], v[16:17], off offset:1584
	global_load_dwordx4 v[16:19], v[16:17], off offset:1600
	s_waitcnt vmcnt(1)
	v_mul_f64 v[20:21], v[0:1], v[14:15]
	s_waitcnt vmcnt(0)
	v_mul_f64 v[22:23], v[8:9], v[18:19]
	v_mul_f64 v[14:15], v[2:3], v[14:15]
	;; [unrolled: 1-line block ×3, first 2 shown]
	v_fma_f64 v[2:3], v[2:3], v[12:13], v[20:21]
	v_fma_f64 v[10:11], v[10:11], v[16:17], v[22:23]
	v_fma_f64 v[0:1], v[0:1], v[12:13], -v[14:15]
	v_fma_f64 v[8:9], v[8:9], v[16:17], -v[18:19]
	v_add_f64 v[18:19], v[6:7], v[2:3]
	v_add_f64 v[12:13], v[2:3], v[10:11]
	v_add_f64 v[20:21], v[2:3], -v[10:11]
	v_add_f64 v[14:15], v[0:1], v[8:9]
	v_add_f64 v[16:17], v[0:1], -v[8:9]
	v_add_f64 v[0:1], v[4:5], v[0:1]
	v_add_f64 v[2:3], v[18:19], v[10:11]
	v_fma_f64 v[12:13], v[12:13], -0.5, v[6:7]
	v_fma_f64 v[4:5], v[14:15], -0.5, v[4:5]
	v_add_f64 v[0:1], v[0:1], v[8:9]
	v_fma_f64 v[10:11], v[16:17], s[6:7], v[12:13]
	v_fma_f64 v[6:7], v[16:17], s[4:5], v[12:13]
	;; [unrolled: 1-line block ×4, first 2 shown]
	ds_write_b128 v49, v[0:3] offset:1584
	ds_write_b128 v49, v[8:11] offset:3344
	;; [unrolled: 1-line block ×3, first 2 shown]
.LBB0_22:
	s_or_b32 exec_lo, exec_lo, s1
	s_waitcnt lgkmcnt(0)
	s_barrier
	buffer_gl0_inv
	s_and_saveexec_b32 s0, vcc_lo
	s_cbranch_execz .LBB0_24
; %bb.23:
	v_mov_b32_e32 v49, 0
	v_lshl_add_u32 v30, v48, 4, v112
	v_add_nc_u32_e32 v8, 33, v48
	v_add_co_u32 v31, vcc_lo, s2, v50
	v_mov_b32_e32 v9, v49
	v_lshlrev_b64 v[12:13], 4, v[48:49]
	ds_read_b128 v[0:3], v30
	ds_read_b128 v[4:7], v30 offset:528
	v_add_co_ci_u32_e32 v32, vcc_lo, s3, v51, vcc_lo
	v_lshlrev_b64 v[14:15], 4, v[8:9]
	ds_read_b128 v[8:11], v30 offset:1056
	v_add_nc_u32_e32 v16, 0x42, v48
	v_mov_b32_e32 v17, v49
	v_add_co_u32 v20, vcc_lo, v31, v12
	v_add_co_ci_u32_e32 v21, vcc_lo, v32, v13, vcc_lo
	v_lshlrev_b64 v[12:13], 4, v[16:17]
	v_add_nc_u32_e32 v16, 0x63, v48
	v_add_co_u32 v22, vcc_lo, v31, v14
	v_add_co_ci_u32_e32 v23, vcc_lo, v32, v15, vcc_lo
	v_lshlrev_b64 v[26:27], 4, v[16:17]
	ds_read_b128 v[16:19], v30 offset:2112
	v_add_co_u32 v24, vcc_lo, v31, v12
	v_add_nc_u32_e32 v28, 0x84, v48
	v_mov_b32_e32 v29, v49
	v_add_co_ci_u32_e32 v25, vcc_lo, v32, v13, vcc_lo
	ds_read_b128 v[12:15], v30 offset:1584
	s_waitcnt lgkmcnt(4)
	global_store_dwordx4 v[20:21], v[0:3], off
	s_waitcnt lgkmcnt(3)
	global_store_dwordx4 v[22:23], v[4:7], off
	;; [unrolled: 2-line block ×3, first 2 shown]
	v_lshlrev_b64 v[0:1], 4, v[28:29]
	v_add_co_u32 v2, vcc_lo, v31, v26
	v_add_co_ci_u32_e32 v3, vcc_lo, v32, v27, vcc_lo
	v_add_nc_u32_e32 v4, 0xa5, v48
	v_mov_b32_e32 v5, v49
	v_add_co_u32 v6, vcc_lo, v31, v0
	v_add_co_ci_u32_e32 v7, vcc_lo, v32, v1, vcc_lo
	v_add_nc_u32_e32 v8, 0xc6, v48
	v_mov_b32_e32 v9, v49
	v_lshlrev_b64 v[4:5], 4, v[4:5]
	s_waitcnt lgkmcnt(1)
	global_store_dwordx4 v[6:7], v[16:19], off
	v_add_nc_u32_e32 v24, 0x108, v48
	v_mov_b32_e32 v25, v49
	v_lshlrev_b64 v[6:7], 4, v[8:9]
	s_waitcnt lgkmcnt(0)
	global_store_dwordx4 v[2:3], v[12:15], off
	v_add_co_u32 v20, vcc_lo, v31, v4
	v_add_nc_u32_e32 v12, 0xe7, v48
	v_mov_b32_e32 v13, v49
	v_add_co_ci_u32_e32 v21, vcc_lo, v32, v5, vcc_lo
	v_add_co_u32 v22, vcc_lo, v31, v6
	ds_read_b128 v[0:3], v30 offset:2640
	v_add_co_ci_u32_e32 v23, vcc_lo, v32, v7, vcc_lo
	ds_read_b128 v[4:7], v30 offset:3168
	ds_read_b128 v[8:11], v30 offset:3696
	v_lshlrev_b64 v[26:27], 4, v[12:13]
	ds_read_b128 v[12:15], v30 offset:4224
	ds_read_b128 v[16:19], v30 offset:4752
	v_add_nc_u32_e32 v48, 0x129, v48
	v_lshlrev_b64 v[24:25], 4, v[24:25]
	v_add_co_u32 v26, vcc_lo, v31, v26
	v_lshlrev_b64 v[28:29], 4, v[48:49]
	v_add_co_ci_u32_e32 v27, vcc_lo, v32, v27, vcc_lo
	v_add_co_u32 v24, vcc_lo, v31, v24
	v_add_co_ci_u32_e32 v25, vcc_lo, v32, v25, vcc_lo
	v_add_co_u32 v28, vcc_lo, v31, v28
	v_add_co_ci_u32_e32 v29, vcc_lo, v32, v29, vcc_lo
	s_waitcnt lgkmcnt(4)
	global_store_dwordx4 v[20:21], v[0:3], off
	s_waitcnt lgkmcnt(3)
	global_store_dwordx4 v[22:23], v[4:7], off
	;; [unrolled: 2-line block ×5, first 2 shown]
.LBB0_24:
	s_endpgm
	.section	.rodata,"a",@progbits
	.p2align	6, 0x0
	.amdhsa_kernel fft_rtc_fwd_len330_factors_11_10_3_wgs_99_tpt_33_dp_ip_CI_unitstride_sbrr_C2R_dirReg
		.amdhsa_group_segment_fixed_size 0
		.amdhsa_private_segment_fixed_size 0
		.amdhsa_kernarg_size 88
		.amdhsa_user_sgpr_count 6
		.amdhsa_user_sgpr_private_segment_buffer 1
		.amdhsa_user_sgpr_dispatch_ptr 0
		.amdhsa_user_sgpr_queue_ptr 0
		.amdhsa_user_sgpr_kernarg_segment_ptr 1
		.amdhsa_user_sgpr_dispatch_id 0
		.amdhsa_user_sgpr_flat_scratch_init 0
		.amdhsa_user_sgpr_private_segment_size 0
		.amdhsa_wavefront_size32 1
		.amdhsa_uses_dynamic_stack 0
		.amdhsa_system_sgpr_private_segment_wavefront_offset 0
		.amdhsa_system_sgpr_workgroup_id_x 1
		.amdhsa_system_sgpr_workgroup_id_y 0
		.amdhsa_system_sgpr_workgroup_id_z 0
		.amdhsa_system_sgpr_workgroup_info 0
		.amdhsa_system_vgpr_workitem_id 0
		.amdhsa_next_free_vgpr 128
		.amdhsa_next_free_sgpr 36
		.amdhsa_reserve_vcc 1
		.amdhsa_reserve_flat_scratch 0
		.amdhsa_float_round_mode_32 0
		.amdhsa_float_round_mode_16_64 0
		.amdhsa_float_denorm_mode_32 3
		.amdhsa_float_denorm_mode_16_64 3
		.amdhsa_dx10_clamp 1
		.amdhsa_ieee_mode 1
		.amdhsa_fp16_overflow 0
		.amdhsa_workgroup_processor_mode 1
		.amdhsa_memory_ordered 1
		.amdhsa_forward_progress 0
		.amdhsa_shared_vgpr_count 0
		.amdhsa_exception_fp_ieee_invalid_op 0
		.amdhsa_exception_fp_denorm_src 0
		.amdhsa_exception_fp_ieee_div_zero 0
		.amdhsa_exception_fp_ieee_overflow 0
		.amdhsa_exception_fp_ieee_underflow 0
		.amdhsa_exception_fp_ieee_inexact 0
		.amdhsa_exception_int_div_zero 0
	.end_amdhsa_kernel
	.text
.Lfunc_end0:
	.size	fft_rtc_fwd_len330_factors_11_10_3_wgs_99_tpt_33_dp_ip_CI_unitstride_sbrr_C2R_dirReg, .Lfunc_end0-fft_rtc_fwd_len330_factors_11_10_3_wgs_99_tpt_33_dp_ip_CI_unitstride_sbrr_C2R_dirReg
                                        ; -- End function
	.section	.AMDGPU.csdata,"",@progbits
; Kernel info:
; codeLenInByte = 9176
; NumSgprs: 38
; NumVgprs: 128
; ScratchSize: 0
; MemoryBound: 0
; FloatMode: 240
; IeeeMode: 1
; LDSByteSize: 0 bytes/workgroup (compile time only)
; SGPRBlocks: 4
; VGPRBlocks: 15
; NumSGPRsForWavesPerEU: 38
; NumVGPRsForWavesPerEU: 128
; Occupancy: 8
; WaveLimiterHint : 1
; COMPUTE_PGM_RSRC2:SCRATCH_EN: 0
; COMPUTE_PGM_RSRC2:USER_SGPR: 6
; COMPUTE_PGM_RSRC2:TRAP_HANDLER: 0
; COMPUTE_PGM_RSRC2:TGID_X_EN: 1
; COMPUTE_PGM_RSRC2:TGID_Y_EN: 0
; COMPUTE_PGM_RSRC2:TGID_Z_EN: 0
; COMPUTE_PGM_RSRC2:TIDIG_COMP_CNT: 0
	.text
	.p2alignl 6, 3214868480
	.fill 48, 4, 3214868480
	.type	__hip_cuid_a0e1852be34f12c,@object ; @__hip_cuid_a0e1852be34f12c
	.section	.bss,"aw",@nobits
	.globl	__hip_cuid_a0e1852be34f12c
__hip_cuid_a0e1852be34f12c:
	.byte	0                               ; 0x0
	.size	__hip_cuid_a0e1852be34f12c, 1

	.ident	"AMD clang version 19.0.0git (https://github.com/RadeonOpenCompute/llvm-project roc-6.4.0 25133 c7fe45cf4b819c5991fe208aaa96edf142730f1d)"
	.section	".note.GNU-stack","",@progbits
	.addrsig
	.addrsig_sym __hip_cuid_a0e1852be34f12c
	.amdgpu_metadata
---
amdhsa.kernels:
  - .args:
      - .actual_access:  read_only
        .address_space:  global
        .offset:         0
        .size:           8
        .value_kind:     global_buffer
      - .offset:         8
        .size:           8
        .value_kind:     by_value
      - .actual_access:  read_only
        .address_space:  global
        .offset:         16
        .size:           8
        .value_kind:     global_buffer
      - .actual_access:  read_only
        .address_space:  global
        .offset:         24
        .size:           8
        .value_kind:     global_buffer
      - .offset:         32
        .size:           8
        .value_kind:     by_value
      - .actual_access:  read_only
        .address_space:  global
        .offset:         40
        .size:           8
        .value_kind:     global_buffer
      - .actual_access:  read_only
        .address_space:  global
        .offset:         48
        .size:           8
        .value_kind:     global_buffer
      - .offset:         56
        .size:           4
        .value_kind:     by_value
      - .actual_access:  read_only
        .address_space:  global
        .offset:         64
        .size:           8
        .value_kind:     global_buffer
      - .actual_access:  read_only
        .address_space:  global
        .offset:         72
        .size:           8
        .value_kind:     global_buffer
      - .address_space:  global
        .offset:         80
        .size:           8
        .value_kind:     global_buffer
    .group_segment_fixed_size: 0
    .kernarg_segment_align: 8
    .kernarg_segment_size: 88
    .language:       OpenCL C
    .language_version:
      - 2
      - 0
    .max_flat_workgroup_size: 99
    .name:           fft_rtc_fwd_len330_factors_11_10_3_wgs_99_tpt_33_dp_ip_CI_unitstride_sbrr_C2R_dirReg
    .private_segment_fixed_size: 0
    .sgpr_count:     38
    .sgpr_spill_count: 0
    .symbol:         fft_rtc_fwd_len330_factors_11_10_3_wgs_99_tpt_33_dp_ip_CI_unitstride_sbrr_C2R_dirReg.kd
    .uniform_work_group_size: 1
    .uses_dynamic_stack: false
    .vgpr_count:     128
    .vgpr_spill_count: 0
    .wavefront_size: 32
    .workgroup_processor_mode: 1
amdhsa.target:   amdgcn-amd-amdhsa--gfx1030
amdhsa.version:
  - 1
  - 2
...

	.end_amdgpu_metadata
